;; amdgpu-corpus repo=ROCm/rocFFT kind=compiled arch=gfx906 opt=O3
	.text
	.amdgcn_target "amdgcn-amd-amdhsa--gfx906"
	.amdhsa_code_object_version 6
	.protected	fft_rtc_back_len200_factors_10_10_2_wgs_60_tpt_20_halfLds_dp_ip_CI_unitstride_sbrr_C2R_dirReg ; -- Begin function fft_rtc_back_len200_factors_10_10_2_wgs_60_tpt_20_halfLds_dp_ip_CI_unitstride_sbrr_C2R_dirReg
	.globl	fft_rtc_back_len200_factors_10_10_2_wgs_60_tpt_20_halfLds_dp_ip_CI_unitstride_sbrr_C2R_dirReg
	.p2align	8
	.type	fft_rtc_back_len200_factors_10_10_2_wgs_60_tpt_20_halfLds_dp_ip_CI_unitstride_sbrr_C2R_dirReg,@function
fft_rtc_back_len200_factors_10_10_2_wgs_60_tpt_20_halfLds_dp_ip_CI_unitstride_sbrr_C2R_dirReg: ; @fft_rtc_back_len200_factors_10_10_2_wgs_60_tpt_20_halfLds_dp_ip_CI_unitstride_sbrr_C2R_dirReg
; %bb.0:
	s_load_dwordx2 s[2:3], s[4:5], 0x50
	s_load_dwordx4 s[8:11], s[4:5], 0x0
	s_load_dwordx2 s[12:13], s[4:5], 0x18
	v_mul_u32_u24_e32 v1, 0xccd, v0
	v_lshrrev_b32_e32 v1, 16, v1
	v_mad_u64_u32 v[1:2], s[0:1], s6, 3, v[1:2]
	v_mov_b32_e32 v5, 0
	s_waitcnt lgkmcnt(0)
	v_cmp_lt_u64_e64 s[0:1], s[10:11], 2
	v_mov_b32_e32 v2, v5
	v_mov_b32_e32 v3, 0
	;; [unrolled: 1-line block ×3, first 2 shown]
	s_and_b64 vcc, exec, s[0:1]
	v_mov_b32_e32 v4, 0
	v_mov_b32_e32 v9, v1
	s_cbranch_vccnz .LBB0_8
; %bb.1:
	s_load_dwordx2 s[0:1], s[4:5], 0x10
	s_add_u32 s6, s12, 8
	s_addc_u32 s7, s13, 0
	v_mov_b32_e32 v3, 0
	v_mov_b32_e32 v8, v2
	s_waitcnt lgkmcnt(0)
	s_add_u32 s16, s0, 8
	s_mov_b64 s[14:15], 1
	v_mov_b32_e32 v4, 0
	s_addc_u32 s17, s1, 0
	v_mov_b32_e32 v7, v1
.LBB0_2:                                ; =>This Inner Loop Header: Depth=1
	s_load_dwordx2 s[18:19], s[16:17], 0x0
                                        ; implicit-def: $vgpr9_vgpr10
	s_waitcnt lgkmcnt(0)
	v_or_b32_e32 v6, s19, v8
	v_cmp_ne_u64_e32 vcc, 0, v[5:6]
	s_and_saveexec_b64 s[0:1], vcc
	s_xor_b64 s[20:21], exec, s[0:1]
	s_cbranch_execz .LBB0_4
; %bb.3:                                ;   in Loop: Header=BB0_2 Depth=1
	v_cvt_f32_u32_e32 v2, s18
	v_cvt_f32_u32_e32 v6, s19
	s_sub_u32 s0, 0, s18
	s_subb_u32 s1, 0, s19
	v_mac_f32_e32 v2, 0x4f800000, v6
	v_rcp_f32_e32 v2, v2
	v_mul_f32_e32 v2, 0x5f7ffffc, v2
	v_mul_f32_e32 v6, 0x2f800000, v2
	v_trunc_f32_e32 v6, v6
	v_mac_f32_e32 v2, 0xcf800000, v6
	v_cvt_u32_f32_e32 v6, v6
	v_cvt_u32_f32_e32 v2, v2
	v_mul_lo_u32 v9, s0, v6
	v_mul_hi_u32 v10, s0, v2
	v_mul_lo_u32 v12, s1, v2
	v_mul_lo_u32 v11, s0, v2
	v_add_u32_e32 v9, v10, v9
	v_add_u32_e32 v9, v9, v12
	v_mul_hi_u32 v10, v2, v11
	v_mul_lo_u32 v12, v2, v9
	v_mul_hi_u32 v14, v2, v9
	v_mul_hi_u32 v13, v6, v11
	v_mul_lo_u32 v11, v6, v11
	v_mul_hi_u32 v15, v6, v9
	v_add_co_u32_e32 v10, vcc, v10, v12
	v_addc_co_u32_e32 v12, vcc, 0, v14, vcc
	v_mul_lo_u32 v9, v6, v9
	v_add_co_u32_e32 v10, vcc, v10, v11
	v_addc_co_u32_e32 v10, vcc, v12, v13, vcc
	v_addc_co_u32_e32 v11, vcc, 0, v15, vcc
	v_add_co_u32_e32 v9, vcc, v10, v9
	v_addc_co_u32_e32 v10, vcc, 0, v11, vcc
	v_add_co_u32_e32 v2, vcc, v2, v9
	v_addc_co_u32_e32 v6, vcc, v6, v10, vcc
	v_mul_lo_u32 v9, s0, v6
	v_mul_hi_u32 v10, s0, v2
	v_mul_lo_u32 v11, s1, v2
	v_mul_lo_u32 v12, s0, v2
	v_add_u32_e32 v9, v10, v9
	v_add_u32_e32 v9, v9, v11
	v_mul_lo_u32 v13, v2, v9
	v_mul_hi_u32 v14, v2, v12
	v_mul_hi_u32 v15, v2, v9
	;; [unrolled: 1-line block ×3, first 2 shown]
	v_mul_lo_u32 v12, v6, v12
	v_mul_hi_u32 v10, v6, v9
	v_add_co_u32_e32 v13, vcc, v14, v13
	v_addc_co_u32_e32 v14, vcc, 0, v15, vcc
	v_mul_lo_u32 v9, v6, v9
	v_add_co_u32_e32 v12, vcc, v13, v12
	v_addc_co_u32_e32 v11, vcc, v14, v11, vcc
	v_addc_co_u32_e32 v10, vcc, 0, v10, vcc
	v_add_co_u32_e32 v9, vcc, v11, v9
	v_addc_co_u32_e32 v10, vcc, 0, v10, vcc
	v_add_co_u32_e32 v2, vcc, v2, v9
	v_addc_co_u32_e32 v6, vcc, v6, v10, vcc
	v_mad_u64_u32 v[9:10], s[0:1], v7, v6, 0
	v_mul_hi_u32 v11, v7, v2
	v_add_co_u32_e32 v13, vcc, v11, v9
	v_addc_co_u32_e32 v14, vcc, 0, v10, vcc
	v_mad_u64_u32 v[9:10], s[0:1], v8, v2, 0
	v_mad_u64_u32 v[11:12], s[0:1], v8, v6, 0
	v_add_co_u32_e32 v2, vcc, v13, v9
	v_addc_co_u32_e32 v2, vcc, v14, v10, vcc
	v_addc_co_u32_e32 v6, vcc, 0, v12, vcc
	v_add_co_u32_e32 v2, vcc, v2, v11
	v_addc_co_u32_e32 v6, vcc, 0, v6, vcc
	v_mul_lo_u32 v11, s19, v2
	v_mul_lo_u32 v12, s18, v6
	v_mad_u64_u32 v[9:10], s[0:1], s18, v2, 0
	v_add3_u32 v10, v10, v12, v11
	v_sub_u32_e32 v11, v8, v10
	v_mov_b32_e32 v12, s19
	v_sub_co_u32_e32 v9, vcc, v7, v9
	v_subb_co_u32_e64 v11, s[0:1], v11, v12, vcc
	v_subrev_co_u32_e64 v12, s[0:1], s18, v9
	v_subbrev_co_u32_e64 v11, s[0:1], 0, v11, s[0:1]
	v_cmp_le_u32_e64 s[0:1], s19, v11
	v_cndmask_b32_e64 v13, 0, -1, s[0:1]
	v_cmp_le_u32_e64 s[0:1], s18, v12
	v_cndmask_b32_e64 v12, 0, -1, s[0:1]
	v_cmp_eq_u32_e64 s[0:1], s19, v11
	v_cndmask_b32_e64 v11, v13, v12, s[0:1]
	v_add_co_u32_e64 v12, s[0:1], 2, v2
	v_addc_co_u32_e64 v13, s[0:1], 0, v6, s[0:1]
	v_add_co_u32_e64 v14, s[0:1], 1, v2
	v_addc_co_u32_e64 v15, s[0:1], 0, v6, s[0:1]
	v_subb_co_u32_e32 v10, vcc, v8, v10, vcc
	v_cmp_ne_u32_e64 s[0:1], 0, v11
	v_cmp_le_u32_e32 vcc, s19, v10
	v_cndmask_b32_e64 v11, v15, v13, s[0:1]
	v_cndmask_b32_e64 v13, 0, -1, vcc
	v_cmp_le_u32_e32 vcc, s18, v9
	v_cndmask_b32_e64 v9, 0, -1, vcc
	v_cmp_eq_u32_e32 vcc, s19, v10
	v_cndmask_b32_e32 v9, v13, v9, vcc
	v_cmp_ne_u32_e32 vcc, 0, v9
	v_cndmask_b32_e32 v10, v6, v11, vcc
	v_cndmask_b32_e64 v6, v14, v12, s[0:1]
	v_cndmask_b32_e32 v9, v2, v6, vcc
.LBB0_4:                                ;   in Loop: Header=BB0_2 Depth=1
	s_andn2_saveexec_b64 s[0:1], s[20:21]
	s_cbranch_execz .LBB0_6
; %bb.5:                                ;   in Loop: Header=BB0_2 Depth=1
	v_cvt_f32_u32_e32 v2, s18
	s_sub_i32 s20, 0, s18
	v_rcp_iflag_f32_e32 v2, v2
	v_mul_f32_e32 v2, 0x4f7ffffe, v2
	v_cvt_u32_f32_e32 v2, v2
	v_mul_lo_u32 v6, s20, v2
	v_mul_hi_u32 v6, v2, v6
	v_add_u32_e32 v2, v2, v6
	v_mul_hi_u32 v2, v7, v2
	v_mul_lo_u32 v6, v2, s18
	v_add_u32_e32 v9, 1, v2
	v_sub_u32_e32 v6, v7, v6
	v_subrev_u32_e32 v10, s18, v6
	v_cmp_le_u32_e32 vcc, s18, v6
	v_cndmask_b32_e32 v6, v6, v10, vcc
	v_cndmask_b32_e32 v2, v2, v9, vcc
	v_add_u32_e32 v9, 1, v2
	v_cmp_le_u32_e32 vcc, s18, v6
	v_cndmask_b32_e32 v9, v2, v9, vcc
	v_mov_b32_e32 v10, v5
.LBB0_6:                                ;   in Loop: Header=BB0_2 Depth=1
	s_or_b64 exec, exec, s[0:1]
	v_mul_lo_u32 v2, v10, s18
	v_mul_lo_u32 v6, v9, s19
	v_mad_u64_u32 v[11:12], s[0:1], v9, s18, 0
	s_load_dwordx2 s[0:1], s[6:7], 0x0
	s_add_u32 s14, s14, 1
	v_add3_u32 v2, v12, v6, v2
	v_sub_co_u32_e32 v6, vcc, v7, v11
	v_subb_co_u32_e32 v2, vcc, v8, v2, vcc
	s_waitcnt lgkmcnt(0)
	v_mul_lo_u32 v2, s0, v2
	v_mul_lo_u32 v7, s1, v6
	v_mad_u64_u32 v[3:4], s[0:1], s0, v6, v[3:4]
	s_addc_u32 s15, s15, 0
	s_add_u32 s6, s6, 8
	v_add3_u32 v4, v7, v4, v2
	v_mov_b32_e32 v6, s10
	v_mov_b32_e32 v7, s11
	s_addc_u32 s7, s7, 0
	v_cmp_ge_u64_e32 vcc, s[14:15], v[6:7]
	s_add_u32 s16, s16, 8
	s_addc_u32 s17, s17, 0
	s_cbranch_vccnz .LBB0_8
; %bb.7:                                ;   in Loop: Header=BB0_2 Depth=1
	v_mov_b32_e32 v7, v9
	v_mov_b32_e32 v8, v10
	s_branch .LBB0_2
.LBB0_8:
	s_lshl_b64 s[0:1], s[10:11], 3
	s_add_u32 s0, s12, s0
	s_addc_u32 s1, s13, s1
	s_load_dwordx2 s[0:1], s[0:1], 0x0
	s_mov_b32 s6, 0xaaaaaaab
	v_mul_hi_u32 v5, v1, s6
	s_waitcnt lgkmcnt(0)
	v_mul_lo_u32 v6, s0, v10
	v_mul_lo_u32 v7, s1, v9
	v_mad_u64_u32 v[2:3], s[0:1], s0, v9, v[3:4]
	s_load_dwordx2 s[0:1], s[4:5], 0x20
	s_mov_b32 s4, 0xccccccd
	v_lshrrev_b32_e32 v4, 1, v5
	v_mul_hi_u32 v5, v0, s4
	v_lshl_add_u32 v4, v4, 1, v4
	v_sub_u32_e32 v1, v1, v4
	v_add3_u32 v3, v7, v3, v6
	v_mul_u32_u24_e32 v6, 0xc9, v1
	v_mul_u32_u24_e32 v1, 20, v5
	s_waitcnt lgkmcnt(0)
	v_cmp_gt_u64_e32 vcc, s[0:1], v[9:10]
	v_sub_u32_e32 v4, v0, v1
	v_lshlrev_b64 v[22:23], 4, v[2:3]
	v_mov_b32_e32 v5, 0
	v_lshlrev_b32_e32 v51, 4, v6
	v_mov_b32_e32 v20, v4
	s_and_saveexec_b64 s[4:5], vcc
	s_cbranch_execz .LBB0_12
; %bb.9:
	v_mov_b32_e32 v1, s3
	v_add_co_u32_e64 v0, s[0:1], s2, v22
	v_lshlrev_b64 v[2:3], 4, v[4:5]
	v_addc_co_u32_e64 v1, s[0:1], v1, v23, s[0:1]
	v_add_co_u32_e64 v2, s[0:1], v0, v2
	v_addc_co_u32_e64 v3, s[0:1], v1, v3, s[0:1]
	global_load_dwordx4 v[8:11], v[2:3], off
	global_load_dwordx4 v[12:15], v[2:3], off offset:320
	global_load_dwordx4 v[16:19], v[2:3], off offset:640
	;; [unrolled: 1-line block ×9, first 2 shown]
	v_lshlrev_b32_e32 v2, 4, v4
	v_add3_u32 v7, 0, v51, v2
	v_mov_b32_e32 v2, v4
	v_cmp_eq_u32_e64 s[0:1], 19, v4
	v_mov_b32_e32 v3, v5
	s_waitcnt vmcnt(9)
	ds_write_b128 v7, v[8:11]
	s_waitcnt vmcnt(8)
	ds_write_b128 v7, v[12:15] offset:320
	s_waitcnt vmcnt(7)
	ds_write_b128 v7, v[16:19] offset:640
	;; [unrolled: 2-line block ×9, first 2 shown]
	s_and_saveexec_b64 s[6:7], s[0:1]
	s_cbranch_execz .LBB0_11
; %bb.10:
	global_load_dwordx4 v[8:11], v[0:1], off offset:3200
	v_mov_b32_e32 v2, 19
	v_mov_b32_e32 v3, 0
	;; [unrolled: 1-line block ×3, first 2 shown]
	s_waitcnt vmcnt(0)
	ds_write_b128 v7, v[8:11] offset:2896
.LBB0_11:
	s_or_b64 exec, exec, s[6:7]
	v_mov_b32_e32 v20, v4
	v_mov_b32_e32 v5, v3
	;; [unrolled: 1-line block ×3, first 2 shown]
.LBB0_12:
	s_or_b64 exec, exec, s[4:5]
	v_lshl_add_u32 v50, v6, 4, 0
	v_lshlrev_b32_e32 v10, 4, v20
	v_add_u32_e32 v52, v50, v10
	s_waitcnt lgkmcnt(0)
	; wave barrier
	s_waitcnt lgkmcnt(0)
	v_sub_u32_e32 v11, v50, v10
	ds_read_b64 v[6:7], v52
	ds_read_b64 v[8:9], v11 offset:3200
	v_lshlrev_b64 v[24:25], 4, v[4:5]
	v_cmp_ne_u32_e64 s[0:1], 0, v20
	s_waitcnt lgkmcnt(0)
	v_add_f64 v[0:1], v[6:7], v[8:9]
	v_add_f64 v[2:3], v[6:7], -v[8:9]
	s_and_saveexec_b64 s[4:5], s[0:1]
	s_xor_b64 s[4:5], exec, s[4:5]
	s_cbranch_execz .LBB0_14
; %bb.13:
	v_mov_b32_e32 v1, s9
	v_add_co_u32_e64 v0, s[0:1], s8, v24
	v_addc_co_u32_e64 v1, s[0:1], v1, v25, s[0:1]
	global_load_dwordx4 v[2:5], v[0:1], off offset:3040
	ds_read_b64 v[0:1], v11 offset:3208
	ds_read_b64 v[12:13], v52 offset:8
	v_add_f64 v[14:15], v[6:7], v[8:9]
	v_add_f64 v[8:9], v[6:7], -v[8:9]
	s_waitcnt lgkmcnt(0)
	v_add_f64 v[16:17], v[0:1], v[12:13]
	v_add_f64 v[0:1], v[12:13], -v[0:1]
	s_waitcnt vmcnt(0)
	v_fma_f64 v[6:7], -v[8:9], v[4:5], v[14:15]
	v_fma_f64 v[12:13], v[16:17], v[4:5], -v[0:1]
	v_fma_f64 v[14:15], v[8:9], v[4:5], v[14:15]
	v_fma_f64 v[18:19], v[16:17], v[4:5], v[0:1]
	;; [unrolled: 1-line block ×4, first 2 shown]
	v_fma_f64 v[0:1], -v[16:17], v[2:3], v[14:15]
	v_fma_f64 v[2:3], v[8:9], v[2:3], v[18:19]
	ds_write_b128 v11, v[4:7] offset:3200
.LBB0_14:
	s_andn2_saveexec_b64 s[0:1], s[4:5]
	s_cbranch_execz .LBB0_16
; %bb.15:
	ds_read_b128 v[4:7], v50 offset:1600
	s_waitcnt lgkmcnt(0)
	v_add_f64 v[4:5], v[4:5], v[4:5]
	v_mul_f64 v[6:7], v[6:7], -2.0
	ds_write_b128 v50, v[4:7] offset:1600
.LBB0_16:
	s_or_b64 exec, exec, s[0:1]
	ds_write_b128 v52, v[0:3]
	ds_read_b128 v[0:3], v52 offset:320
	ds_read_b128 v[4:7], v11 offset:2880
	v_mov_b32_e32 v21, 0
	s_add_u32 s0, s8, 0xbe0
	v_lshlrev_b64 v[26:27], 4, v[20:21]
	s_addc_u32 s4, s9, 0
	s_waitcnt lgkmcnt(0)
	v_add_f64 v[8:9], v[0:1], v[4:5]
	v_add_f64 v[14:15], v[0:1], -v[4:5]
	v_add_co_u32_e64 v18, s[0:1], s0, v26
	v_mov_b32_e32 v0, s4
	v_addc_co_u32_e64 v19, s[0:1], v0, v27, s[0:1]
	v_add_f64 v[12:13], v[6:7], v[2:3]
	v_add_f64 v[16:17], v[2:3], -v[6:7]
	global_load_dwordx4 v[0:3], v[18:19], off offset:320
	v_add3_u32 v53, 0, v10, v51
	s_mov_b32 s12, 0x134454ff
	s_mov_b32 s13, 0xbfee6f0e
	;; [unrolled: 1-line block ×16, first 2 shown]
	s_movk_i32 s0, 0x90
	s_waitcnt vmcnt(0)
	v_fma_f64 v[4:5], v[14:15], v[2:3], v[8:9]
	v_fma_f64 v[6:7], v[12:13], v[2:3], v[16:17]
	v_fma_f64 v[4:5], -v[12:13], v[0:1], v[4:5]
	v_fma_f64 v[6:7], v[14:15], v[0:1], v[6:7]
	ds_write_b128 v52, v[4:7] offset:320
	v_fma_f64 v[4:5], -v[14:15], v[2:3], v[8:9]
	v_fma_f64 v[2:3], v[12:13], v[2:3], -v[16:17]
	v_fma_f64 v[4:5], v[12:13], v[0:1], v[4:5]
	v_fma_f64 v[6:7], v[14:15], v[0:1], v[2:3]
	ds_write_b128 v11, v[4:7] offset:2880
	ds_read_b128 v[0:3], v52 offset:640
	ds_read_b128 v[4:7], v11 offset:2560
	s_waitcnt lgkmcnt(0)
	v_add_f64 v[8:9], v[0:1], v[4:5]
	v_add_f64 v[12:13], v[6:7], v[2:3]
	v_add_f64 v[14:15], v[0:1], -v[4:5]
	v_add_f64 v[16:17], v[2:3], -v[6:7]
	global_load_dwordx4 v[0:3], v[18:19], off offset:640
	s_waitcnt vmcnt(0)
	v_fma_f64 v[4:5], v[14:15], v[2:3], v[8:9]
	v_fma_f64 v[6:7], v[12:13], v[2:3], v[16:17]
	v_fma_f64 v[4:5], -v[12:13], v[0:1], v[4:5]
	v_fma_f64 v[6:7], v[14:15], v[0:1], v[6:7]
	ds_write_b128 v52, v[4:7] offset:640
	v_fma_f64 v[4:5], -v[14:15], v[2:3], v[8:9]
	v_fma_f64 v[2:3], v[12:13], v[2:3], -v[16:17]
	v_fma_f64 v[4:5], v[12:13], v[0:1], v[4:5]
	v_fma_f64 v[6:7], v[14:15], v[0:1], v[2:3]
	ds_write_b128 v11, v[4:7] offset:2560
	ds_read_b128 v[0:3], v52 offset:960
	ds_read_b128 v[4:7], v11 offset:2240
	s_waitcnt lgkmcnt(0)
	v_add_f64 v[8:9], v[0:1], v[4:5]
	v_add_f64 v[12:13], v[6:7], v[2:3]
	v_add_f64 v[14:15], v[0:1], -v[4:5]
	v_add_f64 v[16:17], v[2:3], -v[6:7]
	global_load_dwordx4 v[0:3], v[18:19], off offset:960
	;; [unrolled: 19-line block ×3, first 2 shown]
	s_waitcnt vmcnt(0)
	v_fma_f64 v[4:5], v[14:15], v[2:3], v[8:9]
	v_fma_f64 v[6:7], v[12:13], v[2:3], v[16:17]
	v_fma_f64 v[4:5], -v[12:13], v[0:1], v[4:5]
	v_fma_f64 v[6:7], v[14:15], v[0:1], v[6:7]
	ds_write_b128 v52, v[4:7] offset:1280
	v_fma_f64 v[4:5], -v[14:15], v[2:3], v[8:9]
	v_fma_f64 v[2:3], v[12:13], v[2:3], -v[16:17]
	v_fma_f64 v[4:5], v[12:13], v[0:1], v[4:5]
	v_fma_f64 v[6:7], v[14:15], v[0:1], v[2:3]
	ds_write_b128 v11, v[4:7] offset:1920
	s_waitcnt lgkmcnt(0)
	; wave barrier
	s_waitcnt lgkmcnt(0)
	s_waitcnt lgkmcnt(0)
	; wave barrier
	s_waitcnt lgkmcnt(0)
	ds_read_b128 v[42:45], v52
	ds_read_b128 v[12:15], v53 offset:320
	ds_read_b128 v[54:57], v53 offset:640
	;; [unrolled: 1-line block ×9, first 2 shown]
	s_waitcnt lgkmcnt(5)
	v_add_f64 v[34:35], v[54:55], -v[58:59]
	s_waitcnt lgkmcnt(3)
	v_add_f64 v[38:39], v[60:61], -v[64:65]
	v_add_f64 v[48:49], v[58:59], -v[62:63]
	v_add_f64 v[28:29], v[42:43], v[54:55]
	s_waitcnt lgkmcnt(1)
	v_add_f64 v[36:37], v[56:57], -v[68:69]
	v_add_f64 v[40:41], v[66:67], -v[62:63]
	;; [unrolled: 1-line block ×3, first 2 shown]
	s_waitcnt lgkmcnt(0)
	; wave barrier
	s_waitcnt lgkmcnt(0)
	v_add_f64 v[28:29], v[28:29], v[58:59]
	v_add_f64 v[34:35], v[34:35], v[40:41]
	;; [unrolled: 1-line block ×5, first 2 shown]
	v_add_f64 v[62:63], v[8:9], -v[16:17]
	v_fma_f64 v[28:29], v[28:29], -0.5, v[42:43]
	v_fma_f64 v[30:31], v[36:37], s[12:13], v[28:29]
	v_fma_f64 v[28:29], v[36:37], s[6:7], v[28:29]
	;; [unrolled: 1-line block ×6, first 2 shown]
	v_add_f64 v[28:29], v[54:55], v[66:67]
	v_fma_f64 v[28:29], v[28:29], -0.5, v[42:43]
	v_add_f64 v[42:43], v[58:59], -v[54:55]
	v_add_f64 v[58:59], v[68:69], -v[64:65]
	v_fma_f64 v[40:41], v[38:39], s[6:7], v[28:29]
	v_fma_f64 v[28:29], v[38:39], s[12:13], v[28:29]
	v_add_f64 v[42:43], v[42:43], v[46:47]
	v_fma_f64 v[40:41], v[36:37], s[14:15], v[40:41]
	v_fma_f64 v[28:29], v[36:37], s[4:5], v[28:29]
	v_add_f64 v[36:37], v[54:55], -v[66:67]
	v_add_f64 v[54:55], v[56:57], -v[60:61]
	;; [unrolled: 1-line block ×3, first 2 shown]
	v_fma_f64 v[40:41], v[42:43], s[10:11], v[40:41]
	v_fma_f64 v[42:43], v[42:43], s[10:11], v[28:29]
	v_add_f64 v[28:29], v[44:45], v[56:57]
	v_add_f64 v[54:55], v[54:55], v[58:59]
	v_add_f64 v[58:59], v[64:65], -v[68:69]
	v_add_f64 v[28:29], v[28:29], v[60:61]
	v_add_f64 v[28:29], v[28:29], v[64:65]
	v_add_f64 v[46:47], v[28:29], v[68:69]
	v_add_f64 v[28:29], v[60:61], v[64:65]
	v_add_f64 v[64:65], v[4:5], -v[0:1]
	v_fma_f64 v[28:29], v[28:29], -0.5, v[44:45]
	v_add_f64 v[62:63], v[62:63], v[64:65]
	v_add_f64 v[64:65], v[16:17], -v[8:9]
	v_fma_f64 v[38:39], v[36:37], s[6:7], v[28:29]
	v_fma_f64 v[28:29], v[36:37], s[12:13], v[28:29]
	v_add_f64 v[64:65], v[64:65], v[66:67]
	v_fma_f64 v[38:39], v[48:49], s[4:5], v[38:39]
	v_fma_f64 v[28:29], v[48:49], s[14:15], v[28:29]
	v_fma_f64 v[38:39], v[54:55], s[10:11], v[38:39]
	v_fma_f64 v[28:29], v[54:55], s[10:11], v[28:29]
	v_add_f64 v[54:55], v[56:57], v[68:69]
	v_add_f64 v[56:57], v[60:61], -v[56:57]
	v_add_f64 v[60:61], v[18:19], -v[2:3]
	v_fma_f64 v[54:55], v[54:55], -0.5, v[44:45]
	v_add_f64 v[56:57], v[56:57], v[58:59]
	v_fma_f64 v[44:45], v[48:49], s[12:13], v[54:55]
	v_fma_f64 v[48:49], v[48:49], s[6:7], v[54:55]
	v_add_f64 v[54:55], v[16:17], v[0:1]
	v_fma_f64 v[44:45], v[36:37], s[4:5], v[44:45]
	v_fma_f64 v[36:37], v[36:37], s[14:15], v[48:49]
	v_fma_f64 v[54:55], v[54:55], -0.5, v[12:13]
	v_add_f64 v[48:49], v[12:13], v[8:9]
	v_fma_f64 v[44:45], v[56:57], s[10:11], v[44:45]
	v_fma_f64 v[36:37], v[56:57], s[10:11], v[36:37]
	v_add_f64 v[56:57], v[10:11], -v[6:7]
	v_add_f64 v[48:49], v[48:49], v[16:17]
	v_fma_f64 v[58:59], v[56:57], s[12:13], v[54:55]
	v_fma_f64 v[54:55], v[56:57], s[6:7], v[54:55]
	v_add_f64 v[48:49], v[48:49], v[0:1]
	v_add_f64 v[0:1], v[16:17], -v[0:1]
	v_add_f64 v[16:17], v[10:11], -v[18:19]
	v_fma_f64 v[58:59], v[60:61], s[14:15], v[58:59]
	v_fma_f64 v[54:55], v[60:61], s[4:5], v[54:55]
	v_add_f64 v[48:49], v[48:49], v[4:5]
	v_fma_f64 v[58:59], v[62:63], s[10:11], v[58:59]
	v_fma_f64 v[54:55], v[62:63], s[10:11], v[54:55]
	v_add_f64 v[62:63], v[8:9], v[4:5]
	v_add_f64 v[4:5], v[8:9], -v[4:5]
	v_fma_f64 v[12:13], v[62:63], -0.5, v[12:13]
	v_fma_f64 v[62:63], v[60:61], s[6:7], v[12:13]
	v_fma_f64 v[12:13], v[60:61], s[12:13], v[12:13]
	;; [unrolled: 1-line block ×6, first 2 shown]
	v_add_f64 v[12:13], v[14:15], v[10:11]
	v_add_f64 v[64:65], v[6:7], -v[2:3]
	v_add_f64 v[12:13], v[12:13], v[18:19]
	v_add_f64 v[16:17], v[16:17], v[64:65]
	;; [unrolled: 1-line block ×5, first 2 shown]
	v_add_f64 v[2:3], v[2:3], -v[6:7]
	v_fma_f64 v[12:13], v[12:13], -0.5, v[14:15]
	v_fma_f64 v[8:9], v[4:5], s[6:7], v[12:13]
	v_fma_f64 v[8:9], v[0:1], s[4:5], v[8:9]
	;; [unrolled: 1-line block ×6, first 2 shown]
	v_add_f64 v[8:9], v[10:11], v[6:7]
	v_add_f64 v[10:11], v[18:19], -v[10:11]
	v_mul_f64 v[6:7], v[58:59], s[4:5]
	v_mul_f64 v[18:19], v[66:67], s[20:21]
	v_fma_f64 v[8:9], v[8:9], -0.5, v[14:15]
	v_add_f64 v[2:3], v[10:11], v[2:3]
	v_fma_f64 v[12:13], v[0:1], s[12:13], v[8:9]
	v_fma_f64 v[0:1], v[0:1], s[6:7], v[8:9]
	;; [unrolled: 1-line block ×6, first 2 shown]
	v_mul_f64 v[2:3], v[64:65], s[14:15]
	v_fma_f64 v[64:65], v[64:65], s[16:17], v[6:7]
	v_add_f64 v[0:1], v[32:33], v[48:49]
	v_add_f64 v[32:33], v[32:33], -v[48:49]
	v_fma_f64 v[68:69], v[58:59], s[16:17], v[2:3]
	v_mul_f64 v[2:3], v[10:11], s[12:13]
	v_mul_f64 v[10:11], v[10:11], s[10:11]
	v_add_f64 v[6:7], v[38:39], v[64:65]
	v_add_f64 v[4:5], v[30:31], v[68:69]
	v_fma_f64 v[70:71], v[62:63], s[10:11], v[2:3]
	v_mul_f64 v[2:3], v[14:15], s[12:13]
	v_mul_f64 v[14:15], v[14:15], s[18:19]
	v_fma_f64 v[76:77], v[62:63], s[6:7], v[10:11]
	v_add_f64 v[8:9], v[40:41], v[70:71]
	v_fma_f64 v[72:73], v[56:57], s[18:19], v[2:3]
	v_mul_f64 v[2:3], v[66:67], s[14:15]
	v_fma_f64 v[66:67], v[54:55], s[4:5], v[18:19]
	v_fma_f64 v[78:79], v[56:57], s[6:7], v[14:15]
	v_add_f64 v[56:57], v[38:39], -v[64:65]
	v_add_f64 v[10:11], v[44:45], v[76:77]
	v_mov_b32_e32 v38, s9
	v_add_f64 v[40:41], v[40:41], -v[70:71]
	v_add_f64 v[12:13], v[42:43], v[72:73]
	v_fma_f64 v[74:75], v[54:55], s[20:21], v[2:3]
	v_add_f64 v[2:3], v[46:47], v[60:61]
	v_add_f64 v[18:19], v[28:29], v[66:67]
	v_add_f64 v[64:65], v[28:29], -v[66:67]
	v_mad_u32_u24 v28, v20, s0, v53
	s_movk_i32 s0, 0xff70
	v_add_f64 v[14:15], v[36:37], v[78:79]
	v_add_f64 v[58:59], v[42:43], -v[72:73]
	v_add_f64 v[16:17], v[34:35], v[74:75]
	v_add_f64 v[62:63], v[34:35], -v[74:75]
	v_add_f64 v[34:35], v[46:47], -v[60:61]
	;; [unrolled: 1-line block ×4, first 2 shown]
	v_mad_i32_i24 v44, v20, s0, v28
	v_add_u32_e32 v36, -10, v20
	v_cmp_gt_u32_e64 s[0:1], 10, v20
	v_cndmask_b32_e64 v45, v36, v20, s[0:1]
	v_mul_i32_i24_e32 v36, 9, v45
	v_mov_b32_e32 v37, v21
	v_lshlrev_b64 v[36:37], 4, v[36:37]
	v_add_f64 v[54:55], v[30:31], -v[68:69]
	v_add_co_u32_e64 v36, s[0:1], s8, v36
	v_addc_co_u32_e64 v37, s[0:1], v38, v37, s[0:1]
	ds_write_b128 v28, v[0:3]
	ds_write_b128 v28, v[4:7] offset:16
	ds_write_b128 v28, v[8:11] offset:32
	;; [unrolled: 1-line block ×9, first 2 shown]
	s_waitcnt lgkmcnt(0)
	; wave barrier
	s_waitcnt lgkmcnt(0)
	ds_read_b128 v[0:3], v52
	ds_read_b128 v[4:7], v44 offset:320
	ds_read_b128 v[8:11], v44 offset:640
	;; [unrolled: 1-line block ×9, first 2 shown]
	global_load_dwordx4 v[40:43], v[36:37], off offset:48
	global_load_dwordx4 v[62:65], v[36:37], off offset:32
	;; [unrolled: 1-line block ×3, first 2 shown]
	global_load_dwordx4 v[70:73], v[36:37], off
	v_cmp_lt_u32_e64 s[0:1], 9, v20
	s_waitcnt vmcnt(0) lgkmcnt(8)
	v_mul_f64 v[38:39], v[6:7], v[72:73]
	v_fma_f64 v[38:39], v[4:5], v[70:71], v[38:39]
	v_mul_f64 v[4:5], v[4:5], v[72:73]
	v_fma_f64 v[6:7], v[6:7], v[70:71], -v[4:5]
	s_waitcnt lgkmcnt(7)
	v_mul_f64 v[4:5], v[10:11], v[68:69]
	v_fma_f64 v[70:71], v[8:9], v[66:67], v[4:5]
	v_mul_f64 v[4:5], v[8:9], v[68:69]
	v_fma_f64 v[8:9], v[10:11], v[66:67], -v[4:5]
	s_waitcnt lgkmcnt(6)
	v_mul_f64 v[4:5], v[14:15], v[64:65]
	v_fma_f64 v[10:11], v[12:13], v[62:63], v[4:5]
	v_mul_f64 v[4:5], v[12:13], v[64:65]
	s_waitcnt lgkmcnt(5)
	v_mul_f64 v[12:13], v[18:19], v[42:43]
	v_fma_f64 v[4:5], v[14:15], v[62:63], -v[4:5]
	v_fma_f64 v[72:73], v[16:17], v[40:41], v[12:13]
	v_mul_f64 v[12:13], v[16:17], v[42:43]
	v_fma_f64 v[74:75], v[18:19], v[40:41], -v[12:13]
	global_load_dwordx4 v[12:15], v[36:37], off offset:112
	global_load_dwordx4 v[16:19], v[36:37], off offset:96
	;; [unrolled: 1-line block ×4, first 2 shown]
	s_waitcnt vmcnt(0) lgkmcnt(4)
	v_mul_f64 v[40:41], v[30:31], v[68:69]
	v_fma_f64 v[40:41], v[28:29], v[66:67], v[40:41]
	v_mul_f64 v[28:29], v[28:29], v[68:69]
	v_fma_f64 v[28:29], v[30:31], v[66:67], -v[28:29]
	s_waitcnt lgkmcnt(3)
	v_mul_f64 v[30:31], v[34:35], v[64:65]
	v_fma_f64 v[66:67], v[32:33], v[62:63], v[30:31]
	v_mul_f64 v[30:31], v[32:33], v[64:65]
	v_fma_f64 v[62:63], v[34:35], v[62:63], -v[30:31]
	s_waitcnt lgkmcnt(2)
	v_mul_f64 v[30:31], v[48:49], v[18:19]
	v_mul_f64 v[18:19], v[46:47], v[18:19]
	v_fma_f64 v[42:43], v[46:47], v[16:17], v[30:31]
	v_fma_f64 v[30:31], v[48:49], v[16:17], -v[18:19]
	s_waitcnt lgkmcnt(1)
	v_mul_f64 v[16:17], v[56:57], v[14:15]
	v_mul_f64 v[14:15], v[54:55], v[14:15]
	v_add_f64 v[18:19], v[70:71], -v[72:73]
	v_fma_f64 v[46:47], v[54:55], v[12:13], v[16:17]
	v_fma_f64 v[48:49], v[56:57], v[12:13], -v[14:15]
	global_load_dwordx4 v[12:15], v[36:37], off offset:128
	v_add_f64 v[36:37], v[74:75], -v[62:63]
	s_waitcnt lgkmcnt(0)
	; wave barrier
	s_waitcnt lgkmcnt(0)
	v_add_f64 v[34:35], v[46:47], -v[66:67]
	v_add_f64 v[32:33], v[8:9], -v[48:49]
	;; [unrolled: 1-line block ×3, first 2 shown]
	v_add_f64 v[18:19], v[18:19], v[34:35]
	v_add_f64 v[34:35], v[72:73], -v[70:71]
	s_waitcnt vmcnt(0)
	v_mul_f64 v[16:17], v[60:61], v[14:15]
	v_mul_f64 v[14:15], v[58:59], v[14:15]
	v_fma_f64 v[54:55], v[58:59], v[12:13], v[16:17]
	v_fma_f64 v[56:57], v[60:61], v[12:13], -v[14:15]
	v_add_f64 v[14:15], v[72:73], v[66:67]
	v_add_f64 v[12:13], v[0:1], v[70:71]
	v_add_f64 v[58:59], v[66:67], -v[46:47]
	v_add_f64 v[60:61], v[8:9], -v[74:75]
	;; [unrolled: 1-line block ×3, first 2 shown]
	v_fma_f64 v[14:15], v[14:15], -0.5, v[0:1]
	v_add_f64 v[12:13], v[12:13], v[72:73]
	v_add_f64 v[58:59], v[34:35], v[58:59]
	;; [unrolled: 1-line block ×3, first 2 shown]
	v_add_f64 v[64:65], v[10:11], -v[40:41]
	v_fma_f64 v[16:17], v[32:33], s[12:13], v[14:15]
	v_fma_f64 v[14:15], v[32:33], s[6:7], v[14:15]
	v_add_f64 v[12:13], v[12:13], v[66:67]
	v_fma_f64 v[16:17], v[36:37], s[14:15], v[16:17]
	v_fma_f64 v[14:15], v[36:37], s[4:5], v[14:15]
	v_add_f64 v[12:13], v[12:13], v[46:47]
	;; [unrolled: 3-line block ×3, first 2 shown]
	v_add_f64 v[46:47], v[70:71], -v[46:47]
	v_fma_f64 v[0:1], v[14:15], -0.5, v[0:1]
	v_fma_f64 v[14:15], v[36:37], s[6:7], v[0:1]
	v_fma_f64 v[0:1], v[36:37], s[12:13], v[0:1]
	;; [unrolled: 1-line block ×6, first 2 shown]
	v_add_f64 v[0:1], v[2:3], v[8:9]
	v_add_f64 v[58:59], v[72:73], -v[66:67]
	v_add_f64 v[66:67], v[54:55], -v[42:43]
	v_add_f64 v[0:1], v[0:1], v[74:75]
	v_add_f64 v[64:65], v[64:65], v[66:67]
	v_add_f64 v[66:67], v[40:41], -v[10:11]
	v_add_f64 v[0:1], v[0:1], v[62:63]
	v_add_f64 v[66:67], v[66:67], v[68:69]
	;; [unrolled: 1-line block ×4, first 2 shown]
	v_fma_f64 v[0:1], v[0:1], -0.5, v[2:3]
	v_fma_f64 v[14:15], v[46:47], s[6:7], v[0:1]
	v_fma_f64 v[0:1], v[46:47], s[12:13], v[0:1]
	;; [unrolled: 1-line block ×6, first 2 shown]
	v_add_f64 v[60:61], v[8:9], v[48:49]
	v_add_f64 v[8:9], v[74:75], -v[8:9]
	v_add_f64 v[48:49], v[62:63], -v[48:49]
	;; [unrolled: 1-line block ×3, first 2 shown]
	v_fma_f64 v[2:3], v[60:61], -0.5, v[2:3]
	v_add_f64 v[48:49], v[8:9], v[48:49]
	v_fma_f64 v[60:61], v[58:59], s[12:13], v[2:3]
	v_fma_f64 v[2:3], v[58:59], s[6:7], v[2:3]
	;; [unrolled: 1-line block ×4, first 2 shown]
	v_add_f64 v[46:47], v[38:39], v[10:11]
	v_fma_f64 v[8:9], v[48:49], s[10:11], v[60:61]
	v_fma_f64 v[2:3], v[48:49], s[10:11], v[2:3]
	v_add_f64 v[46:47], v[46:47], v[40:41]
	v_add_f64 v[48:49], v[4:5], -v[56:57]
	v_add_f64 v[46:47], v[46:47], v[42:43]
	v_add_f64 v[58:59], v[46:47], v[54:55]
	;; [unrolled: 1-line block ×3, first 2 shown]
	v_add_f64 v[40:41], v[40:41], -v[42:43]
	v_fma_f64 v[46:47], v[46:47], -0.5, v[38:39]
	v_fma_f64 v[60:61], v[48:49], s[12:13], v[46:47]
	v_fma_f64 v[46:47], v[48:49], s[6:7], v[46:47]
	;; [unrolled: 1-line block ×6, first 2 shown]
	v_add_f64 v[46:47], v[10:11], v[54:55]
	v_add_f64 v[10:11], v[10:11], -v[54:55]
	v_add_f64 v[54:55], v[56:57], -v[30:31]
	v_fma_f64 v[38:39], v[46:47], -0.5, v[38:39]
	v_fma_f64 v[46:47], v[62:63], s[6:7], v[38:39]
	v_fma_f64 v[38:39], v[62:63], s[12:13], v[38:39]
	;; [unrolled: 1-line block ×6, first 2 shown]
	v_add_f64 v[38:39], v[6:7], v[4:5]
	v_add_f64 v[38:39], v[38:39], v[28:29]
	;; [unrolled: 1-line block ×5, first 2 shown]
	v_fma_f64 v[38:39], v[38:39], -0.5, v[6:7]
	v_fma_f64 v[46:47], v[10:11], s[6:7], v[38:39]
	v_fma_f64 v[38:39], v[10:11], s[12:13], v[38:39]
	v_fma_f64 v[42:43], v[40:41], s[4:5], v[46:47]
	v_add_f64 v[46:47], v[4:5], -v[28:29]
	v_fma_f64 v[38:39], v[40:41], s[14:15], v[38:39]
	v_add_f64 v[46:47], v[46:47], v[54:55]
	v_fma_f64 v[62:63], v[46:47], s[10:11], v[38:39]
	v_add_f64 v[38:39], v[4:5], v[56:57]
	v_add_f64 v[4:5], v[28:29], -v[4:5]
	v_add_f64 v[28:29], v[30:31], -v[56:57]
	v_fma_f64 v[42:43], v[46:47], s[10:11], v[42:43]
	v_fma_f64 v[6:7], v[38:39], -0.5, v[6:7]
	v_add_f64 v[4:5], v[4:5], v[28:29]
	v_mul_f64 v[30:31], v[42:43], s[16:17]
	v_fma_f64 v[38:39], v[40:41], s[12:13], v[6:7]
	v_fma_f64 v[6:7], v[40:41], s[6:7], v[6:7]
	;; [unrolled: 1-line block ×6, first 2 shown]
	v_mul_f64 v[6:7], v[42:43], s[14:15]
	v_fma_f64 v[42:43], v[60:61], s[4:5], v[30:31]
	v_add_f64 v[4:5], v[12:13], v[58:59]
	v_mul_f64 v[40:41], v[56:57], s[10:11]
	v_fma_f64 v[70:71], v[60:61], s[16:17], v[6:7]
	v_mul_f64 v[6:7], v[56:57], s[12:13]
	v_add_f64 v[30:31], v[14:15], v[42:43]
	v_fma_f64 v[60:61], v[68:69], s[6:7], v[40:41]
	v_add_f64 v[28:29], v[16:17], v[70:71]
	v_fma_f64 v[72:73], v[68:69], s[10:11], v[6:7]
	v_mul_f64 v[6:7], v[10:11], s[12:13]
	v_mul_f64 v[10:11], v[10:11], s[18:19]
	v_add_f64 v[16:17], v[16:17], -v[70:71]
	v_add_f64 v[40:41], v[8:9], v[60:61]
	v_add_f64 v[38:39], v[34:35], v[72:73]
	v_fma_f64 v[74:75], v[48:49], s[18:19], v[6:7]
	v_mul_f64 v[6:7], v[62:63], s[14:15]
	v_fma_f64 v[68:69], v[48:49], s[6:7], v[10:11]
	v_mul_f64 v[10:11], v[62:63], s[20:21]
	v_add_f64 v[34:35], v[34:35], -v[72:73]
	v_add_f64 v[46:47], v[36:37], v[74:75]
	v_fma_f64 v[76:77], v[64:65], s[20:21], v[6:7]
	v_add_f64 v[6:7], v[32:33], v[66:67]
	v_fma_f64 v[64:65], v[64:65], s[4:5], v[10:11]
	v_add_f64 v[48:49], v[2:3], v[68:69]
	v_add_f64 v[10:11], v[12:13], -v[58:59]
	v_add_f64 v[12:13], v[32:33], -v[66:67]
	;; [unrolled: 1-line block ×4, first 2 shown]
	v_add_f64 v[54:55], v[18:19], v[76:77]
	v_add_f64 v[62:63], v[18:19], -v[76:77]
	v_add_f64 v[56:57], v[0:1], v[64:65]
	v_add_f64 v[64:65], v[0:1], -v[64:65]
	v_mov_b32_e32 v0, 0x640
	v_cndmask_b32_e64 v0, 0, v0, s[0:1]
	v_add_f64 v[18:19], v[14:15], -v[42:43]
	v_add_u32_e32 v0, 0, v0
	v_lshlrev_b32_e32 v1, 4, v45
	v_add3_u32 v0, v0, v1, v51
	v_add_f64 v[60:61], v[2:3], -v[68:69]
	ds_write_b128 v0, v[4:7]
	ds_write_b128 v0, v[28:31] offset:160
	ds_write_b128 v0, v[38:41] offset:320
	;; [unrolled: 1-line block ×9, first 2 shown]
	v_add_co_u32_e64 v24, s[0:1], s8, v24
	v_mov_b32_e32 v49, s9
	v_addc_co_u32_e64 v25, s[0:1], v49, v25, s[0:1]
	s_waitcnt lgkmcnt(0)
	; wave barrier
	s_waitcnt lgkmcnt(0)
	ds_read_b128 v[0:3], v52
	ds_read_b128 v[4:7], v53 offset:1600
	ds_read_b128 v[8:11], v44 offset:320
	;; [unrolled: 1-line block ×9, first 2 shown]
	global_load_dwordx4 v[54:57], v[24:25], off offset:1440
	v_add_co_u32_e64 v26, s[0:1], s8, v26
	s_waitcnt vmcnt(0) lgkmcnt(8)
	v_mul_f64 v[24:25], v[6:7], v[56:57]
	v_fma_f64 v[24:25], v[4:5], v[54:55], v[24:25]
	v_mul_f64 v[4:5], v[4:5], v[56:57]
	v_fma_f64 v[51:52], v[6:7], v[54:55], -v[4:5]
	v_mov_b32_e32 v4, s9
	v_addc_co_u32_e64 v27, s[0:1], v4, v27, s[0:1]
	global_load_dwordx4 v[4:7], v[26:27], off offset:1760
	s_waitcnt vmcnt(0) lgkmcnt(6)
	v_mul_f64 v[54:55], v[14:15], v[6:7]
	v_mul_f64 v[6:7], v[12:13], v[6:7]
	v_fma_f64 v[54:55], v[12:13], v[4:5], v[54:55]
	v_fma_f64 v[12:13], v[14:15], v[4:5], -v[6:7]
	global_load_dwordx4 v[4:7], v[26:27], off offset:2080
	s_waitcnt vmcnt(0) lgkmcnt(4)
	v_mul_f64 v[14:15], v[30:31], v[6:7]
	v_mul_f64 v[6:7], v[28:29], v[6:7]
	v_fma_f64 v[14:15], v[28:29], v[4:5], v[14:15]
	v_fma_f64 v[28:29], v[30:31], v[4:5], -v[6:7]
	global_load_dwordx4 v[4:7], v[26:27], off offset:2400
	v_add_f64 v[28:29], v[18:19], -v[28:29]
	s_waitcnt vmcnt(0) lgkmcnt(2)
	v_mul_f64 v[30:31], v[38:39], v[6:7]
	v_mul_f64 v[6:7], v[36:37], v[6:7]
	v_fma_f64 v[30:31], v[36:37], v[4:5], v[30:31]
	v_fma_f64 v[36:37], v[38:39], v[4:5], -v[6:7]
	global_load_dwordx4 v[4:7], v[26:27], off offset:2720
	s_waitcnt lgkmcnt(0)
	; wave barrier
	s_waitcnt lgkmcnt(0)
	v_add_f64 v[30:31], v[32:33], -v[30:31]
	v_add_f64 v[36:37], v[34:35], -v[36:37]
	s_waitcnt vmcnt(0)
	v_mul_f64 v[26:27], v[47:48], v[6:7]
	v_mul_f64 v[6:7], v[45:46], v[6:7]
	v_fma_f64 v[26:27], v[45:46], v[4:5], v[26:27]
	v_fma_f64 v[38:39], v[47:48], v[4:5], -v[6:7]
	v_add_f64 v[6:7], v[2:3], -v[51:52]
	v_add_f64 v[51:52], v[16:17], -v[14:15]
	;; [unrolled: 1-line block ×5, first 2 shown]
	v_fma_f64 v[14:15], v[18:19], 2.0, -v[28:29]
	v_fma_f64 v[18:19], v[34:35], 2.0, -v[36:37]
	v_add_f64 v[34:35], v[42:43], -v[38:39]
	v_fma_f64 v[2:3], v[2:3], 2.0, -v[6:7]
	v_fma_f64 v[12:13], v[16:17], 2.0, -v[51:52]
	;; [unrolled: 1-line block ×3, first 2 shown]
	v_add_f64 v[32:33], v[40:41], -v[26:27]
	v_fma_f64 v[0:1], v[0:1], 2.0, -v[4:5]
	v_fma_f64 v[8:9], v[8:9], 2.0, -v[45:46]
	;; [unrolled: 1-line block ×4, first 2 shown]
	ds_write_b128 v53, v[0:3]
	ds_write_b128 v53, v[4:7] offset:1600
	ds_write_b128 v44, v[8:11] offset:320
	ds_write2_b64 v44, v[45:46], v[47:48] offset0:240 offset1:241
	ds_write_b128 v44, v[12:15] offset:640
	v_fma_f64 v[24:25], v[40:41], 2.0, -v[32:33]
	v_add_u32_e32 v0, 0x800, v44
	ds_write2_b64 v0, v[51:52], v[28:29] offset0:24 offset1:25
	ds_write_b128 v44, v[16:19] offset:960
	ds_write2_b64 v0, v[30:31], v[36:37] offset0:64 offset1:65
	ds_write_b128 v44, v[24:27] offset:1280
	ds_write2_b64 v0, v[32:33], v[34:35] offset0:104 offset1:105
	s_waitcnt lgkmcnt(0)
	; wave barrier
	s_waitcnt lgkmcnt(0)
	s_and_saveexec_b64 s[0:1], vcc
	s_cbranch_execz .LBB0_18
; %bb.17:
	v_lshl_add_u32 v10, v20, 4, v50
	ds_read_b128 v[0:3], v10
	v_mov_b32_e32 v4, s3
	v_add_co_u32_e32 v11, vcc, s2, v22
	v_addc_co_u32_e32 v12, vcc, v4, v23, vcc
	v_lshlrev_b64 v[4:5], 4, v[20:21]
	v_add_co_u32_e32 v8, vcc, v11, v4
	v_addc_co_u32_e32 v9, vcc, v12, v5, vcc
	ds_read_b128 v[4:7], v10 offset:320
	s_waitcnt lgkmcnt(1)
	global_store_dwordx4 v[8:9], v[0:3], off
	s_nop 0
	v_add_u32_e32 v0, 20, v20
	v_mov_b32_e32 v1, v21
	v_lshlrev_b64 v[0:1], 4, v[0:1]
	v_add_co_u32_e32 v0, vcc, v11, v0
	v_addc_co_u32_e32 v1, vcc, v12, v1, vcc
	s_waitcnt lgkmcnt(0)
	global_store_dwordx4 v[0:1], v[4:7], off
	ds_read_b128 v[0:3], v10 offset:640
	v_add_u32_e32 v4, 40, v20
	v_mov_b32_e32 v5, v21
	v_lshlrev_b64 v[4:5], 4, v[4:5]
	v_add_co_u32_e32 v8, vcc, v11, v4
	v_addc_co_u32_e32 v9, vcc, v12, v5, vcc
	ds_read_b128 v[4:7], v10 offset:960
	s_waitcnt lgkmcnt(1)
	global_store_dwordx4 v[8:9], v[0:3], off
	s_nop 0
	v_add_u32_e32 v0, 60, v20
	v_mov_b32_e32 v1, v21
	v_lshlrev_b64 v[0:1], 4, v[0:1]
	v_add_co_u32_e32 v0, vcc, v11, v0
	v_addc_co_u32_e32 v1, vcc, v12, v1, vcc
	s_waitcnt lgkmcnt(0)
	global_store_dwordx4 v[0:1], v[4:7], off
	ds_read_b128 v[0:3], v10 offset:1280
	v_add_u32_e32 v4, 0x50, v20
	v_mov_b32_e32 v5, v21
	v_lshlrev_b64 v[4:5], 4, v[4:5]
	v_add_co_u32_e32 v8, vcc, v11, v4
	v_addc_co_u32_e32 v9, vcc, v12, v5, vcc
	ds_read_b128 v[4:7], v10 offset:1600
	s_waitcnt lgkmcnt(1)
	global_store_dwordx4 v[8:9], v[0:3], off
	s_nop 0
	v_add_u32_e32 v0, 0x64, v20
	v_mov_b32_e32 v1, v21
	v_lshlrev_b64 v[0:1], 4, v[0:1]
	v_add_co_u32_e32 v0, vcc, v11, v0
	v_addc_co_u32_e32 v1, vcc, v12, v1, vcc
	s_waitcnt lgkmcnt(0)
	global_store_dwordx4 v[0:1], v[4:7], off
	ds_read_b128 v[0:3], v10 offset:1920
	v_add_u32_e32 v4, 0x78, v20
	v_mov_b32_e32 v5, v21
	v_lshlrev_b64 v[4:5], 4, v[4:5]
	v_add_co_u32_e32 v8, vcc, v11, v4
	v_addc_co_u32_e32 v9, vcc, v12, v5, vcc
	ds_read_b128 v[4:7], v10 offset:2240
	s_waitcnt lgkmcnt(1)
	global_store_dwordx4 v[8:9], v[0:3], off
	s_nop 0
	v_add_u32_e32 v0, 0x8c, v20
	v_mov_b32_e32 v1, v21
	v_lshlrev_b64 v[0:1], 4, v[0:1]
	v_add_co_u32_e32 v0, vcc, v11, v0
	v_addc_co_u32_e32 v1, vcc, v12, v1, vcc
	s_waitcnt lgkmcnt(0)
	global_store_dwordx4 v[0:1], v[4:7], off
	ds_read_b128 v[0:3], v10 offset:2560
	v_add_u32_e32 v4, 0xa0, v20
	v_mov_b32_e32 v5, v21
	v_lshlrev_b64 v[4:5], 4, v[4:5]
	v_add_u32_e32 v20, 0xb4, v20
	v_add_co_u32_e32 v8, vcc, v11, v4
	v_addc_co_u32_e32 v9, vcc, v12, v5, vcc
	ds_read_b128 v[4:7], v10 offset:2880
	s_waitcnt lgkmcnt(1)
	global_store_dwordx4 v[8:9], v[0:3], off
	s_nop 0
	v_lshlrev_b64 v[0:1], 4, v[20:21]
	v_add_co_u32_e32 v0, vcc, v11, v0
	v_addc_co_u32_e32 v1, vcc, v12, v1, vcc
	s_waitcnt lgkmcnt(0)
	global_store_dwordx4 v[0:1], v[4:7], off
.LBB0_18:
	s_endpgm
	.section	.rodata,"a",@progbits
	.p2align	6, 0x0
	.amdhsa_kernel fft_rtc_back_len200_factors_10_10_2_wgs_60_tpt_20_halfLds_dp_ip_CI_unitstride_sbrr_C2R_dirReg
		.amdhsa_group_segment_fixed_size 0
		.amdhsa_private_segment_fixed_size 0
		.amdhsa_kernarg_size 88
		.amdhsa_user_sgpr_count 6
		.amdhsa_user_sgpr_private_segment_buffer 1
		.amdhsa_user_sgpr_dispatch_ptr 0
		.amdhsa_user_sgpr_queue_ptr 0
		.amdhsa_user_sgpr_kernarg_segment_ptr 1
		.amdhsa_user_sgpr_dispatch_id 0
		.amdhsa_user_sgpr_flat_scratch_init 0
		.amdhsa_user_sgpr_private_segment_size 0
		.amdhsa_uses_dynamic_stack 0
		.amdhsa_system_sgpr_private_segment_wavefront_offset 0
		.amdhsa_system_sgpr_workgroup_id_x 1
		.amdhsa_system_sgpr_workgroup_id_y 0
		.amdhsa_system_sgpr_workgroup_id_z 0
		.amdhsa_system_sgpr_workgroup_info 0
		.amdhsa_system_vgpr_workitem_id 0
		.amdhsa_next_free_vgpr 80
		.amdhsa_next_free_sgpr 22
		.amdhsa_reserve_vcc 1
		.amdhsa_reserve_flat_scratch 0
		.amdhsa_float_round_mode_32 0
		.amdhsa_float_round_mode_16_64 0
		.amdhsa_float_denorm_mode_32 3
		.amdhsa_float_denorm_mode_16_64 3
		.amdhsa_dx10_clamp 1
		.amdhsa_ieee_mode 1
		.amdhsa_fp16_overflow 0
		.amdhsa_exception_fp_ieee_invalid_op 0
		.amdhsa_exception_fp_denorm_src 0
		.amdhsa_exception_fp_ieee_div_zero 0
		.amdhsa_exception_fp_ieee_overflow 0
		.amdhsa_exception_fp_ieee_underflow 0
		.amdhsa_exception_fp_ieee_inexact 0
		.amdhsa_exception_int_div_zero 0
	.end_amdhsa_kernel
	.text
.Lfunc_end0:
	.size	fft_rtc_back_len200_factors_10_10_2_wgs_60_tpt_20_halfLds_dp_ip_CI_unitstride_sbrr_C2R_dirReg, .Lfunc_end0-fft_rtc_back_len200_factors_10_10_2_wgs_60_tpt_20_halfLds_dp_ip_CI_unitstride_sbrr_C2R_dirReg
                                        ; -- End function
	.section	.AMDGPU.csdata,"",@progbits
; Kernel info:
; codeLenInByte = 6936
; NumSgprs: 26
; NumVgprs: 80
; ScratchSize: 0
; MemoryBound: 0
; FloatMode: 240
; IeeeMode: 1
; LDSByteSize: 0 bytes/workgroup (compile time only)
; SGPRBlocks: 3
; VGPRBlocks: 19
; NumSGPRsForWavesPerEU: 26
; NumVGPRsForWavesPerEU: 80
; Occupancy: 3
; WaveLimiterHint : 1
; COMPUTE_PGM_RSRC2:SCRATCH_EN: 0
; COMPUTE_PGM_RSRC2:USER_SGPR: 6
; COMPUTE_PGM_RSRC2:TRAP_HANDLER: 0
; COMPUTE_PGM_RSRC2:TGID_X_EN: 1
; COMPUTE_PGM_RSRC2:TGID_Y_EN: 0
; COMPUTE_PGM_RSRC2:TGID_Z_EN: 0
; COMPUTE_PGM_RSRC2:TIDIG_COMP_CNT: 0
	.type	__hip_cuid_b933f48a0395c3a9,@object ; @__hip_cuid_b933f48a0395c3a9
	.section	.bss,"aw",@nobits
	.globl	__hip_cuid_b933f48a0395c3a9
__hip_cuid_b933f48a0395c3a9:
	.byte	0                               ; 0x0
	.size	__hip_cuid_b933f48a0395c3a9, 1

	.ident	"AMD clang version 19.0.0git (https://github.com/RadeonOpenCompute/llvm-project roc-6.4.0 25133 c7fe45cf4b819c5991fe208aaa96edf142730f1d)"
	.section	".note.GNU-stack","",@progbits
	.addrsig
	.addrsig_sym __hip_cuid_b933f48a0395c3a9
	.amdgpu_metadata
---
amdhsa.kernels:
  - .args:
      - .actual_access:  read_only
        .address_space:  global
        .offset:         0
        .size:           8
        .value_kind:     global_buffer
      - .offset:         8
        .size:           8
        .value_kind:     by_value
      - .actual_access:  read_only
        .address_space:  global
        .offset:         16
        .size:           8
        .value_kind:     global_buffer
      - .actual_access:  read_only
        .address_space:  global
        .offset:         24
        .size:           8
        .value_kind:     global_buffer
      - .offset:         32
        .size:           8
        .value_kind:     by_value
      - .actual_access:  read_only
        .address_space:  global
        .offset:         40
        .size:           8
        .value_kind:     global_buffer
      - .actual_access:  read_only
        .address_space:  global
        .offset:         48
        .size:           8
        .value_kind:     global_buffer
      - .offset:         56
        .size:           4
        .value_kind:     by_value
      - .actual_access:  read_only
        .address_space:  global
        .offset:         64
        .size:           8
        .value_kind:     global_buffer
      - .actual_access:  read_only
        .address_space:  global
        .offset:         72
        .size:           8
        .value_kind:     global_buffer
      - .address_space:  global
        .offset:         80
        .size:           8
        .value_kind:     global_buffer
    .group_segment_fixed_size: 0
    .kernarg_segment_align: 8
    .kernarg_segment_size: 88
    .language:       OpenCL C
    .language_version:
      - 2
      - 0
    .max_flat_workgroup_size: 60
    .name:           fft_rtc_back_len200_factors_10_10_2_wgs_60_tpt_20_halfLds_dp_ip_CI_unitstride_sbrr_C2R_dirReg
    .private_segment_fixed_size: 0
    .sgpr_count:     26
    .sgpr_spill_count: 0
    .symbol:         fft_rtc_back_len200_factors_10_10_2_wgs_60_tpt_20_halfLds_dp_ip_CI_unitstride_sbrr_C2R_dirReg.kd
    .uniform_work_group_size: 1
    .uses_dynamic_stack: false
    .vgpr_count:     80
    .vgpr_spill_count: 0
    .wavefront_size: 64
amdhsa.target:   amdgcn-amd-amdhsa--gfx906
amdhsa.version:
  - 1
  - 2
...

	.end_amdgpu_metadata
